;; amdgpu-corpus repo=ROCm/rocFFT kind=compiled arch=gfx1030 opt=O3
	.text
	.amdgcn_target "amdgcn-amd-amdhsa--gfx1030"
	.amdhsa_code_object_version 6
	.protected	fft_rtc_fwd_len3888_factors_16_3_3_3_3_3_wgs_324_tpt_324_halfLds_sp_op_CI_CI_sbrr_dirReg ; -- Begin function fft_rtc_fwd_len3888_factors_16_3_3_3_3_3_wgs_324_tpt_324_halfLds_sp_op_CI_CI_sbrr_dirReg
	.globl	fft_rtc_fwd_len3888_factors_16_3_3_3_3_3_wgs_324_tpt_324_halfLds_sp_op_CI_CI_sbrr_dirReg
	.p2align	8
	.type	fft_rtc_fwd_len3888_factors_16_3_3_3_3_3_wgs_324_tpt_324_halfLds_sp_op_CI_CI_sbrr_dirReg,@function
fft_rtc_fwd_len3888_factors_16_3_3_3_3_3_wgs_324_tpt_324_halfLds_sp_op_CI_CI_sbrr_dirReg: ; @fft_rtc_fwd_len3888_factors_16_3_3_3_3_3_wgs_324_tpt_324_halfLds_sp_op_CI_CI_sbrr_dirReg
; %bb.0:
	s_clause 0x2
	s_load_dwordx4 s[16:19], s[4:5], 0x18
	s_load_dwordx4 s[12:15], s[4:5], 0x0
	;; [unrolled: 1-line block ×3, first 2 shown]
	v_mul_u32_u24_e32 v1, 0x195, v0
	v_mov_b32_e32 v5, 0
	v_mov_b32_e32 v6, 0
	s_waitcnt lgkmcnt(0)
	s_load_dwordx2 s[20:21], s[16:17], 0x0
	s_load_dwordx2 s[2:3], s[18:19], 0x0
	v_lshrrev_b32_e32 v2, 17, v1
	v_mov_b32_e32 v1, 0
	v_cmp_lt_u64_e64 s0, s[14:15], 2
	v_add_nc_u32_e32 v3, s6, v2
	v_mov_b32_e32 v4, v1
	s_and_b32 vcc_lo, exec_lo, s0
	s_cbranch_vccnz .LBB0_8
; %bb.1:
	s_load_dwordx2 s[0:1], s[4:5], 0x10
	v_mov_b32_e32 v5, 0
	v_mov_b32_e32 v6, 0
	s_add_u32 s6, s18, 8
	s_addc_u32 s7, s19, 0
	s_add_u32 s22, s16, 8
	s_addc_u32 s23, s17, 0
	v_mov_b32_e32 v17, v6
	v_mov_b32_e32 v16, v5
	s_mov_b64 s[26:27], 1
	s_waitcnt lgkmcnt(0)
	s_add_u32 s24, s0, 8
	s_addc_u32 s25, s1, 0
.LBB0_2:                                ; =>This Inner Loop Header: Depth=1
	s_load_dwordx2 s[28:29], s[24:25], 0x0
                                        ; implicit-def: $vgpr18_vgpr19
	s_mov_b32 s0, exec_lo
	s_waitcnt lgkmcnt(0)
	v_or_b32_e32 v2, s29, v4
	v_cmpx_ne_u64_e32 0, v[1:2]
	s_xor_b32 s1, exec_lo, s0
	s_cbranch_execz .LBB0_4
; %bb.3:                                ;   in Loop: Header=BB0_2 Depth=1
	v_cvt_f32_u32_e32 v2, s28
	v_cvt_f32_u32_e32 v7, s29
	s_sub_u32 s0, 0, s28
	s_subb_u32 s30, 0, s29
	v_fmac_f32_e32 v2, 0x4f800000, v7
	v_rcp_f32_e32 v2, v2
	v_mul_f32_e32 v2, 0x5f7ffffc, v2
	v_mul_f32_e32 v7, 0x2f800000, v2
	v_trunc_f32_e32 v7, v7
	v_fmac_f32_e32 v2, 0xcf800000, v7
	v_cvt_u32_f32_e32 v7, v7
	v_cvt_u32_f32_e32 v2, v2
	v_mul_lo_u32 v8, s0, v7
	v_mul_hi_u32 v9, s0, v2
	v_mul_lo_u32 v10, s30, v2
	v_add_nc_u32_e32 v8, v9, v8
	v_mul_lo_u32 v9, s0, v2
	v_add_nc_u32_e32 v8, v8, v10
	v_mul_hi_u32 v10, v2, v9
	v_mul_lo_u32 v11, v2, v8
	v_mul_hi_u32 v12, v2, v8
	v_mul_hi_u32 v13, v7, v9
	v_mul_lo_u32 v9, v7, v9
	v_mul_hi_u32 v14, v7, v8
	v_mul_lo_u32 v8, v7, v8
	v_add_co_u32 v10, vcc_lo, v10, v11
	v_add_co_ci_u32_e32 v11, vcc_lo, 0, v12, vcc_lo
	v_add_co_u32 v9, vcc_lo, v10, v9
	v_add_co_ci_u32_e32 v9, vcc_lo, v11, v13, vcc_lo
	v_add_co_ci_u32_e32 v10, vcc_lo, 0, v14, vcc_lo
	v_add_co_u32 v8, vcc_lo, v9, v8
	v_add_co_ci_u32_e32 v9, vcc_lo, 0, v10, vcc_lo
	v_add_co_u32 v2, vcc_lo, v2, v8
	v_add_co_ci_u32_e32 v7, vcc_lo, v7, v9, vcc_lo
	v_mul_hi_u32 v8, s0, v2
	v_mul_lo_u32 v10, s30, v2
	v_mul_lo_u32 v9, s0, v7
	v_add_nc_u32_e32 v8, v8, v9
	v_mul_lo_u32 v9, s0, v2
	v_add_nc_u32_e32 v8, v8, v10
	v_mul_hi_u32 v10, v2, v9
	v_mul_lo_u32 v11, v2, v8
	v_mul_hi_u32 v12, v2, v8
	v_mul_hi_u32 v13, v7, v9
	v_mul_lo_u32 v9, v7, v9
	v_mul_hi_u32 v14, v7, v8
	v_mul_lo_u32 v8, v7, v8
	v_add_co_u32 v10, vcc_lo, v10, v11
	v_add_co_ci_u32_e32 v11, vcc_lo, 0, v12, vcc_lo
	v_add_co_u32 v9, vcc_lo, v10, v9
	v_add_co_ci_u32_e32 v9, vcc_lo, v11, v13, vcc_lo
	v_add_co_ci_u32_e32 v10, vcc_lo, 0, v14, vcc_lo
	v_add_co_u32 v8, vcc_lo, v9, v8
	v_add_co_ci_u32_e32 v9, vcc_lo, 0, v10, vcc_lo
	v_add_co_u32 v2, vcc_lo, v2, v8
	v_add_co_ci_u32_e32 v11, vcc_lo, v7, v9, vcc_lo
	v_mul_hi_u32 v13, v3, v2
	v_mad_u64_u32 v[9:10], null, v4, v2, 0
	v_mad_u64_u32 v[7:8], null, v3, v11, 0
	;; [unrolled: 1-line block ×3, first 2 shown]
	v_add_co_u32 v2, vcc_lo, v13, v7
	v_add_co_ci_u32_e32 v7, vcc_lo, 0, v8, vcc_lo
	v_add_co_u32 v2, vcc_lo, v2, v9
	v_add_co_ci_u32_e32 v2, vcc_lo, v7, v10, vcc_lo
	v_add_co_ci_u32_e32 v7, vcc_lo, 0, v12, vcc_lo
	v_add_co_u32 v2, vcc_lo, v2, v11
	v_add_co_ci_u32_e32 v9, vcc_lo, 0, v7, vcc_lo
	v_mul_lo_u32 v10, s29, v2
	v_mad_u64_u32 v[7:8], null, s28, v2, 0
	v_mul_lo_u32 v11, s28, v9
	v_sub_co_u32 v7, vcc_lo, v3, v7
	v_add3_u32 v8, v8, v11, v10
	v_sub_nc_u32_e32 v10, v4, v8
	v_subrev_co_ci_u32_e64 v10, s0, s29, v10, vcc_lo
	v_add_co_u32 v11, s0, v2, 2
	v_add_co_ci_u32_e64 v12, s0, 0, v9, s0
	v_sub_co_u32 v13, s0, v7, s28
	v_sub_co_ci_u32_e32 v8, vcc_lo, v4, v8, vcc_lo
	v_subrev_co_ci_u32_e64 v10, s0, 0, v10, s0
	v_cmp_le_u32_e32 vcc_lo, s28, v13
	v_cmp_eq_u32_e64 s0, s29, v8
	v_cndmask_b32_e64 v13, 0, -1, vcc_lo
	v_cmp_le_u32_e32 vcc_lo, s29, v10
	v_cndmask_b32_e64 v14, 0, -1, vcc_lo
	v_cmp_le_u32_e32 vcc_lo, s28, v7
	v_cndmask_b32_e64 v7, 0, -1, vcc_lo
	v_cmp_le_u32_e32 vcc_lo, s29, v8
	v_cndmask_b32_e64 v15, 0, -1, vcc_lo
	v_cmp_eq_u32_e32 vcc_lo, s29, v10
	v_cndmask_b32_e64 v7, v15, v7, s0
	v_cndmask_b32_e32 v10, v14, v13, vcc_lo
	v_add_co_u32 v13, vcc_lo, v2, 1
	v_add_co_ci_u32_e32 v14, vcc_lo, 0, v9, vcc_lo
	v_cmp_ne_u32_e32 vcc_lo, 0, v10
	v_cndmask_b32_e32 v8, v14, v12, vcc_lo
	v_cndmask_b32_e32 v10, v13, v11, vcc_lo
	v_cmp_ne_u32_e32 vcc_lo, 0, v7
	v_cndmask_b32_e32 v19, v9, v8, vcc_lo
	v_cndmask_b32_e32 v18, v2, v10, vcc_lo
.LBB0_4:                                ;   in Loop: Header=BB0_2 Depth=1
	s_andn2_saveexec_b32 s0, s1
	s_cbranch_execz .LBB0_6
; %bb.5:                                ;   in Loop: Header=BB0_2 Depth=1
	v_cvt_f32_u32_e32 v2, s28
	s_sub_i32 s1, 0, s28
	v_mov_b32_e32 v19, v1
	v_rcp_iflag_f32_e32 v2, v2
	v_mul_f32_e32 v2, 0x4f7ffffe, v2
	v_cvt_u32_f32_e32 v2, v2
	v_mul_lo_u32 v7, s1, v2
	v_mul_hi_u32 v7, v2, v7
	v_add_nc_u32_e32 v2, v2, v7
	v_mul_hi_u32 v2, v3, v2
	v_mul_lo_u32 v7, v2, s28
	v_add_nc_u32_e32 v8, 1, v2
	v_sub_nc_u32_e32 v7, v3, v7
	v_subrev_nc_u32_e32 v9, s28, v7
	v_cmp_le_u32_e32 vcc_lo, s28, v7
	v_cndmask_b32_e32 v7, v7, v9, vcc_lo
	v_cndmask_b32_e32 v2, v2, v8, vcc_lo
	v_cmp_le_u32_e32 vcc_lo, s28, v7
	v_add_nc_u32_e32 v8, 1, v2
	v_cndmask_b32_e32 v18, v2, v8, vcc_lo
.LBB0_6:                                ;   in Loop: Header=BB0_2 Depth=1
	s_or_b32 exec_lo, exec_lo, s0
	v_mul_lo_u32 v2, v19, s28
	v_mul_lo_u32 v9, v18, s29
	s_load_dwordx2 s[0:1], s[22:23], 0x0
	v_mad_u64_u32 v[7:8], null, v18, s28, 0
	s_load_dwordx2 s[28:29], s[6:7], 0x0
	s_add_u32 s26, s26, 1
	s_addc_u32 s27, s27, 0
	s_add_u32 s6, s6, 8
	s_addc_u32 s7, s7, 0
	s_add_u32 s22, s22, 8
	v_add3_u32 v2, v8, v9, v2
	v_sub_co_u32 v3, vcc_lo, v3, v7
	s_addc_u32 s23, s23, 0
	s_add_u32 s24, s24, 8
	v_sub_co_ci_u32_e32 v2, vcc_lo, v4, v2, vcc_lo
	s_addc_u32 s25, s25, 0
	s_waitcnt lgkmcnt(0)
	v_mul_lo_u32 v4, s0, v2
	v_mul_lo_u32 v7, s1, v3
	v_mad_u64_u32 v[5:6], null, s0, v3, v[5:6]
	v_mul_lo_u32 v2, s28, v2
	v_mul_lo_u32 v8, s29, v3
	v_mad_u64_u32 v[16:17], null, s28, v3, v[16:17]
	v_cmp_ge_u64_e64 s0, s[26:27], s[14:15]
	v_add3_u32 v6, v7, v6, v4
	v_add3_u32 v17, v8, v17, v2
	s_and_b32 vcc_lo, exec_lo, s0
	s_cbranch_vccnz .LBB0_9
; %bb.7:                                ;   in Loop: Header=BB0_2 Depth=1
	v_mov_b32_e32 v3, v18
	v_mov_b32_e32 v4, v19
	s_branch .LBB0_2
.LBB0_8:
	v_mov_b32_e32 v17, v6
	v_mov_b32_e32 v19, v4
	;; [unrolled: 1-line block ×4, first 2 shown]
.LBB0_9:
	s_load_dwordx2 s[4:5], s[4:5], 0x28
	v_mul_hi_u32_u24_e32 v3, 0xca4588, v0
	s_lshl_b64 s[6:7], s[14:15], 3
	v_mov_b32_e32 v2, 0
	v_mov_b32_e32 v1, 0
	;; [unrolled: 1-line block ×3, first 2 shown]
	v_mul_u32_u24_e32 v3, 0x144, v3
	v_mov_b32_e32 v10, 0
	v_mov_b32_e32 v13, 0
	;; [unrolled: 1-line block ×4, first 2 shown]
	v_sub_nc_u32_e32 v38, v0, v3
	v_mov_b32_e32 v8, 0
	v_mov_b32_e32 v4, 0
	v_mov_b32_e32 v3, 0
	v_mov_b32_e32 v15, 0
	v_cmp_gt_u32_e64 s0, 0xf3, v38
	v_mov_b32_e32 v14, 0
	v_add_nc_u32_e32 v39, 0x3cc, v38
	v_add_nc_u32_e32 v40, 0xb64, v38
	s_waitcnt lgkmcnt(0)
	v_cmp_gt_u64_e32 vcc_lo, s[4:5], v[18:19]
	v_mov_b32_e32 v23, 0
	v_mov_b32_e32 v22, 0
	;; [unrolled: 1-line block ×4, first 2 shown]
	s_add_u32 s4, s18, s6
	s_addc_u32 s5, s19, s7
	s_and_b32 s1, vcc_lo, s0
                                        ; implicit-def: $vgpr7
                                        ; implicit-def: $vgpr27
                                        ; implicit-def: $vgpr33
                                        ; implicit-def: $vgpr25
                                        ; implicit-def: $vgpr35
                                        ; implicit-def: $vgpr29
                                        ; implicit-def: $vgpr37
                                        ; implicit-def: $vgpr31
	s_and_saveexec_b32 s14, s1
	s_cbranch_execz .LBB0_11
; %bb.10:
	s_add_u32 s6, s16, s6
	s_addc_u32 s7, s17, s7
	v_add_nc_u32_e32 v14, 0xf3, v38
	s_load_dwordx2 s[6:7], s[6:7], 0x0
	v_add_nc_u32_e32 v15, 0x1e6, v38
	v_add_nc_u32_e32 v22, 0x2d9, v38
	v_mad_u64_u32 v[0:1], null, s20, v38, 0
	v_lshlrev_b64 v[2:3], 3, v[5:6]
	v_mad_u64_u32 v[4:5], null, s20, v14, 0
	v_mad_u64_u32 v[6:7], null, s20, v15, 0
	;; [unrolled: 1-line block ×4, first 2 shown]
	v_add_nc_u32_e32 v26, 0x5b2, v38
	v_add_nc_u32_e32 v28, 0x798, v38
	v_mov_b32_e32 v1, v7
	v_mad_u64_u32 v[13:14], null, s21, v14, v[5:6]
	v_mov_b32_e32 v7, v9
	s_waitcnt lgkmcnt(0)
	v_mul_lo_u32 v20, s7, v18
	v_mul_lo_u32 v21, s6, v19
	v_mad_u64_u32 v[10:11], null, s6, v18, 0
	v_mad_u64_u32 v[14:15], null, s21, v15, v[1:2]
	v_mov_b32_e32 v1, v12
	v_mov_b32_e32 v5, v13
	v_add_nc_u32_e32 v32, 0x97e, v38
	v_add_nc_u32_e32 v41, 0xc57, v38
	v_add3_u32 v11, v11, v21, v20
	v_lshlrev_b64 v[0:1], 3, v[0:1]
	v_mad_u64_u32 v[20:21], null, s20, v39, 0
	v_mad_u64_u32 v[33:34], null, s20, v40, 0
	v_lshlrev_b64 v[9:10], 3, v[10:11]
	v_mad_u64_u32 v[11:12], null, s21, v22, v[7:8]
	v_mov_b32_e32 v7, v14
	v_mad_u64_u32 v[22:23], null, s20, v26, 0
	v_add_co_u32 v12, s1, s8, v9
	v_add_co_ci_u32_e64 v10, s1, s9, v10, s1
	v_mov_b32_e32 v9, v11
	v_add_co_u32 v48, s1, v12, v2
	v_add_co_ci_u32_e64 v49, s1, v10, v3, s1
	v_lshlrev_b64 v[2:3], 3, v[4:5]
	v_add_nc_u32_e32 v10, 0x4bf, v38
	v_add_co_u32 v0, s1, v48, v0
	v_add_co_ci_u32_e64 v1, s1, v49, v1, s1
	v_add_co_u32 v4, s1, v48, v2
	v_mov_b32_e32 v2, v21
	v_lshlrev_b64 v[6:7], 3, v[6:7]
	v_mad_u64_u32 v[14:15], null, s20, v10, 0
	v_lshlrev_b64 v[8:9], 3, v[8:9]
	v_add_co_ci_u32_e64 v5, s1, v49, v3, s1
	v_mad_u64_u32 v[2:3], null, s21, v39, v[2:3]
	v_add_co_u32 v6, s1, v48, v6
	v_add_co_ci_u32_e64 v7, s1, v49, v7, s1
	v_mov_b32_e32 v3, v15
	v_add_co_u32 v8, s1, v48, v8
	v_add_co_ci_u32_e64 v9, s1, v49, v9, s1
	v_mov_b32_e32 v21, v2
	v_mad_u64_u32 v[24:25], null, s21, v10, v[3:4]
	s_clause 0x3
	global_load_dwordx2 v[1:2], v[0:1], off
	global_load_dwordx2 v[10:11], v[4:5], off
	;; [unrolled: 1-line block ×4, first 2 shown]
	v_add_nc_u32_e32 v25, 0x6a5, v38
	v_mov_b32_e32 v0, v23
	v_lshlrev_b64 v[3:4], 3, v[20:21]
	v_mad_u64_u32 v[5:6], null, s20, v25, 0
	v_mov_b32_e32 v15, v24
	v_add_co_u32 v3, s1, v48, v3
	v_add_co_ci_u32_e64 v4, s1, v49, v4, s1
	s_waitcnt vmcnt(3)
	v_mad_u64_u32 v[20:21], null, s21, v26, v[0:1]
	v_mov_b32_e32 v0, v6
	v_lshlrev_b64 v[6:7], 3, v[14:15]
	v_mad_u64_u32 v[14:15], null, s21, v25, v[0:1]
	v_mad_u64_u32 v[24:25], null, s20, v28, 0
	v_mov_b32_e32 v23, v20
	v_add_co_u32 v20, s1, v48, v6
	v_add_co_ci_u32_e64 v21, s1, v49, v7, s1
	v_add_nc_u32_e32 v7, 0x88b, v38
	v_mov_b32_e32 v0, v25
	v_mov_b32_e32 v6, v14
	v_lshlrev_b64 v[22:23], 3, v[22:23]
	v_mad_u64_u32 v[26:27], null, s20, v7, 0
	v_mad_u64_u32 v[14:15], null, s21, v28, v[0:1]
	;; [unrolled: 1-line block ×3, first 2 shown]
	v_lshlrev_b64 v[5:6], 3, v[5:6]
	v_add_co_u32 v22, s1, v48, v22
	v_mov_b32_e32 v0, v27
	v_add_co_ci_u32_e64 v23, s1, v49, v23, s1
	v_mov_b32_e32 v25, v14
	v_add_co_u32 v5, s1, v48, v5
	v_mad_u64_u32 v[30:31], null, s21, v7, v[0:1]
	v_mov_b32_e32 v0, v29
	v_add_nc_u32_e32 v7, 0xa71, v38
	v_add_co_ci_u32_e64 v6, s1, v49, v6, s1
	s_clause 0x3
	global_load_dwordx2 v[3:4], v[3:4], off
	global_load_dwordx2 v[14:15], v[20:21], off
	;; [unrolled: 1-line block ×4, first 2 shown]
	v_lshlrev_b64 v[5:6], 3, v[24:25]
	v_mad_u64_u32 v[24:25], null, s21, v32, v[0:1]
	v_mad_u64_u32 v[31:32], null, s20, v7, 0
	v_mov_b32_e32 v27, v30
	v_add_co_u32 v5, s1, v48, v5
	v_add_co_ci_u32_e64 v6, s1, v49, v6, s1
	v_lshlrev_b64 v[25:26], 3, v[26:27]
	v_mov_b32_e32 v0, v32
	v_mov_b32_e32 v29, v24
	v_mad_u64_u32 v[35:36], null, s21, v7, v[0:1]
	v_mad_u64_u32 v[36:37], null, s20, v41, 0
	v_mov_b32_e32 v0, v34
	v_add_nc_u32_e32 v7, 0xd4a, v38
	v_add_co_u32 v24, s1, v48, v25
	v_add_co_ci_u32_e64 v25, s1, v49, v26, s1
	v_lshlrev_b64 v[26:27], 3, v[28:29]
	v_mad_u64_u32 v[28:29], null, s21, v40, v[0:1]
	v_mov_b32_e32 v0, v37
	v_mov_b32_e32 v32, v35
	v_add_nc_u32_e32 v35, 0xe3d, v38
	v_mad_u64_u32 v[29:30], null, s20, v7, 0
	v_mad_u64_u32 v[41:42], null, s21, v41, v[0:1]
	;; [unrolled: 1-line block ×3, first 2 shown]
	v_add_co_u32 v44, s1, v48, v26
	v_mov_b32_e32 v0, v30
	v_add_co_ci_u32_e64 v45, s1, v49, v27, s1
	v_lshlrev_b64 v[26:27], 3, v[31:32]
	v_mov_b32_e32 v34, v28
	v_mad_u64_u32 v[30:31], null, s21, v7, v[0:1]
	v_mov_b32_e32 v0, v43
	v_mov_b32_e32 v37, v41
	v_add_co_u32 v46, s1, v48, v26
	v_add_co_ci_u32_e64 v47, s1, v49, v27, s1
	v_mad_u64_u32 v[31:32], null, s21, v35, v[0:1]
	v_lshlrev_b64 v[26:27], 3, v[33:34]
	v_lshlrev_b64 v[32:33], 3, v[36:37]
	v_add_co_u32 v34, s1, v48, v26
	v_mov_b32_e32 v43, v31
	v_add_co_ci_u32_e64 v35, s1, v49, v27, s1
	v_lshlrev_b64 v[26:27], 3, v[29:30]
	v_add_co_u32 v28, s1, v48, v32
	v_lshlrev_b64 v[30:31], 3, v[42:43]
	v_add_co_ci_u32_e64 v29, s1, v49, v33, s1
	v_add_co_u32 v36, s1, v48, v26
	v_add_co_ci_u32_e64 v37, s1, v49, v27, s1
	v_add_co_u32 v30, s1, v48, v30
	v_add_co_ci_u32_e64 v31, s1, v49, v31, s1
	s_clause 0x7
	global_load_dwordx2 v[6:7], v[5:6], off
	global_load_dwordx2 v[26:27], v[24:25], off
	;; [unrolled: 1-line block ×8, first 2 shown]
.LBB0_11:
	s_or_b32 exec_lo, exec_lo, s14
	s_waitcnt vmcnt(5)
	v_sub_f32_e32 v42, v12, v32
	v_sub_f32_e32 v33, v13, v33
	s_waitcnt vmcnt(3)
	v_sub_f32_e32 v5, v3, v34
	s_waitcnt vmcnt(1)
	v_sub_f32_e32 v34, v22, v36
	v_sub_f32_e32 v24, v8, v24
	v_fma_f32 v32, v12, 2.0, -v42
	v_fma_f32 v0, v13, 2.0, -v33
	v_sub_f32_e32 v12, v23, v37
	v_sub_f32_e32 v13, v10, v26
	;; [unrolled: 1-line block ×6, first 2 shown]
	s_waitcnt vmcnt(0)
	v_sub_f32_e32 v29, v20, v30
	v_sub_f32_e32 v30, v21, v31
	;; [unrolled: 1-line block ×3, first 2 shown]
	v_fma_f32 v22, v22, 2.0, -v34
	v_fma_f32 v23, v23, 2.0, -v12
	;; [unrolled: 1-line block ×9, first 2 shown]
	v_sub_f32_e32 v28, v13, v28
	v_add_f32_e32 v27, v26, v27
	v_sub_f32_e32 v30, v24, v30
	v_add_f32_e32 v29, v25, v29
	v_fma_f32 v31, v9, 2.0, -v25
	v_sub_f32_e32 v9, v32, v22
	v_sub_f32_e32 v22, v42, v12
	;; [unrolled: 1-line block ×3, first 2 shown]
	v_add_f32_e32 v23, v33, v34
	v_sub_f32_e32 v34, v10, v14
	v_sub_f32_e32 v36, v11, v15
	v_fma_f32 v13, v13, 2.0, -v28
	v_sub_f32_e32 v35, v8, v35
	v_fma_f32 v26, v26, 2.0, -v27
	v_fma_f32 v24, v24, 2.0, -v30
	;; [unrolled: 1-line block ×6, first 2 shown]
	v_sub_f32_e32 v21, v31, v21
	v_fma_f32 v11, v8, 2.0, -v35
	v_fmamk_f32 v8, v24, 0xbf3504f3, v13
	v_fmamk_f32 v10, v25, 0xbf3504f3, v26
	v_fma_f32 v33, v33, 2.0, -v23
	v_mul_f32_e32 v37, 0x3f3504f3, v15
	v_mul_f32_e32 v49, 0x3f3504f3, v23
	v_fmac_f32_e32 v8, 0xbf3504f3, v25
	v_fmac_f32_e32 v10, 0x3f3504f3, v24
	v_fmamk_f32 v15, v30, 0x3f3504f3, v28
	v_fmamk_f32 v23, v29, 0x3f3504f3, v27
	v_sub_f32_e32 v24, v34, v21
	v_add_f32_e32 v25, v36, v35
	v_fma_f32 v31, v31, 2.0, -v21
	v_fmac_f32_e32 v15, 0xbf3504f3, v29
	v_fmac_f32_e32 v23, 0x3f3504f3, v30
	v_fma_f32 v29, v34, 2.0, -v24
	v_fma_f32 v30, v36, 2.0, -v25
	v_mul_f32_e32 v45, 0x3f3504f3, v33
	v_mul_f32_e32 v44, 0x3f3504f3, v22
	v_sub_f32_e32 v11, v20, v11
	v_sub_f32_e32 v47, v14, v31
	v_fma_f32 v13, v13, 2.0, -v8
	v_fma_f32 v22, v26, 2.0, -v10
	;; [unrolled: 1-line block ×4, first 2 shown]
	v_mul_f32_e32 v36, 0x3f3504f3, v29
	v_mul_f32_e32 v46, 0x3f3504f3, v30
	;; [unrolled: 1-line block ×4, first 2 shown]
	s_and_saveexec_b32 s1, s0
	s_cbranch_execz .LBB0_13
; %bb.12:
	v_sub_f32_e32 v6, v1, v6
	v_fma_f32 v3, v3, 2.0, -v5
	v_fma_f32 v26, v32, 2.0, -v9
	;; [unrolled: 1-line block ×3, first 2 shown]
	v_sub_f32_e32 v24, v6, v41
	v_fma_f32 v1, v1, 2.0, -v6
	v_fma_f32 v6, v6, 2.0, -v24
	v_add_f32_e32 v25, v24, v44
	v_sub_f32_e32 v3, v1, v3
	v_sub_f32_e32 v27, v6, v37
	;; [unrolled: 1-line block ×4, first 2 shown]
	v_fma_f32 v1, v1, 2.0, -v3
	v_sub_f32_e32 v33, v27, v45
	v_fmamk_f32 v25, v15, 0x3f6c835e, v28
	v_add_f32_e32 v29, v30, v43
	v_fma_f32 v50, v24, 2.0, -v28
	v_fma_f32 v3, v3, 2.0, -v30
	v_sub_f32_e32 v32, v1, v26
	v_fma_f32 v6, v6, 2.0, -v33
	v_fmac_f32_e32 v25, 0xbec3ef15, v23
	v_sub_f32_e32 v24, v29, v48
	v_fmamk_f32 v27, v8, 0x3ec3ef15, v33
	v_fmamk_f32 v29, v21, 0xbec3ef15, v50
	v_sub_f32_e32 v34, v3, v36
	v_fma_f32 v1, v1, 2.0, -v32
	v_fmamk_f32 v35, v13, 0xbf6c835e, v6
	v_sub_f32_e32 v26, v32, v47
	v_fma_f32 v31, v28, 2.0, -v25
	v_fmac_f32_e32 v27, 0xbf6c835e, v10
	v_fmac_f32_e32 v29, 0xbf6c835e, v42
	v_sub_f32_e32 v28, v34, v46
	v_sub_f32_e32 v34, v1, v20
	v_fmac_f32_e32 v35, 0xbec3ef15, v22
	v_fma_f32 v30, v30, 2.0, -v24
	v_fma_f32 v32, v32, 2.0, -v26
	;; [unrolled: 1-line block ×5, first 2 shown]
	v_lshl_add_u32 v3, v38, 6, 0
	v_fma_f32 v52, v1, 2.0, -v34
	v_fma_f32 v53, v6, 2.0, -v35
	ds_write2_b64 v3, v[32:33], v[30:31] offset0:2 offset1:3
	ds_write2_b64 v3, v[34:35], v[28:29] offset0:4 offset1:5
	ds_write2_b64 v3, v[52:53], v[50:51] offset1:1
	ds_write2_b64 v3, v[26:27], v[24:25] offset0:6 offset1:7
.LBB0_13:
	s_or_b32 exec_lo, exec_lo, s1
	v_lshl_add_u32 v20, v38, 2, 0
	s_waitcnt lgkmcnt(0)
	s_barrier
	buffer_gl0_inv
	ds_read_b32 v24, v20
	ds_read_b32 v25, v20 offset:1296
	ds_read_b32 v26, v20 offset:2592
	;; [unrolled: 1-line block ×11, first 2 shown]
	s_waitcnt lgkmcnt(0)
	s_barrier
	buffer_gl0_inv
	s_and_saveexec_b32 s1, s0
	s_cbranch_execz .LBB0_15
; %bb.14:
	v_sub_f32_e32 v1, v2, v7
	v_fma_f32 v3, v4, 2.0, -v41
	v_fma_f32 v0, v0, 2.0, -v12
	;; [unrolled: 1-line block ×4, first 2 shown]
	v_add_f32_e32 v4, v1, v5
	v_sub_f32_e32 v3, v2, v3
	v_fma_f32 v5, v1, 2.0, -v4
	v_add_f32_e32 v1, v4, v49
	v_fma_f32 v2, v2, 2.0, -v3
	v_sub_f32_e32 v6, v5, v45
	v_add_f32_e32 v41, v3, v9
	v_add_f32_e32 v44, v44, v1
	v_sub_f32_e32 v9, v2, v0
	v_add_f32_e32 v14, v37, v6
	v_fma_f32 v12, v3, 2.0, -v41
	v_fma_f32 v37, v4, 2.0, -v44
	v_fmamk_f32 v1, v23, 0x3f6c835e, v44
	v_fma_f32 v23, v2, 2.0, -v9
	v_fma_f32 v45, v5, 2.0, -v14
	v_add_f32_e32 v0, v41, v48
	v_fmamk_f32 v5, v10, 0x3ec3ef15, v14
	v_sub_f32_e32 v2, v12, v46
	v_fmamk_f32 v3, v42, 0xbec3ef15, v37
	v_sub_f32_e32 v6, v23, v7
	v_fmamk_f32 v7, v22, 0xbf6c835e, v45
	v_add_f32_e32 v4, v9, v11
	v_add_f32_e32 v0, v43, v0
	v_fmac_f32_e32 v1, 0x3ec3ef15, v15
	v_fmac_f32_e32 v5, 0x3f6c835e, v8
	v_add_f32_e32 v2, v36, v2
	v_fmac_f32_e32 v3, 0x3f6c835e, v21
	v_fmac_f32_e32 v7, 0x3ec3ef15, v13
	v_fma_f32 v8, v9, 2.0, -v4
	v_fma_f32 v9, v14, 2.0, -v5
	;; [unrolled: 1-line block ×4, first 2 shown]
	v_mad_u32_u24 v21, v38, 60, v20
	v_fma_f32 v10, v23, 2.0, -v6
	v_fma_f32 v12, v12, 2.0, -v2
	;; [unrolled: 1-line block ×4, first 2 shown]
	ds_write2_b64 v21, v[8:9], v[14:15] offset0:2 offset1:3
	ds_write2_b64 v21, v[6:7], v[2:3] offset0:4 offset1:5
	ds_write2_b64 v21, v[10:11], v[12:13] offset1:1
	ds_write2_b64 v21, v[4:5], v[0:1] offset0:6 offset1:7
.LBB0_15:
	s_or_b32 exec_lo, exec_lo, s1
	v_and_b32_e32 v36, 15, v38
	v_and_b32_e32 v37, 15, v39
	v_add_nc_u32_e32 v21, 0x144, v38
	v_add_nc_u32_e32 v22, 0x288, v38
	s_load_dwordx2 s[4:5], s[4:5], 0x0
	v_lshlrev_b32_e32 v0, 4, v36
	s_waitcnt lgkmcnt(0)
	s_barrier
	buffer_gl0_inv
	v_and_b32_e32 v41, 15, v21
	global_load_dwordx4 v[8:11], v0, s[12:13]
	v_lshlrev_b32_e32 v0, 4, v37
	v_and_b32_e32 v42, 15, v22
	v_lshrrev_b32_e32 v56, 4, v39
	v_mov_b32_e32 v57, 0xaaab
	v_lshrrev_b32_e32 v51, 4, v38
	global_load_dwordx4 v[12:15], v0, s[12:13]
	v_lshlrev_b32_e32 v0, 4, v41
	v_lshlrev_b32_e32 v1, 4, v42
	v_mul_u32_u24_e32 v56, 48, v56
	s_clause 0x1
	global_load_dwordx4 v[4:7], v0, s[12:13]
	global_load_dwordx4 v[0:3], v1, s[12:13]
	ds_read_b32 v43, v20
	ds_read_b32 v44, v20 offset:1296
	ds_read_b32 v45, v20 offset:2592
	;; [unrolled: 1-line block ×11, first 2 shown]
	v_mul_u32_u24_sdwa v60, v38, v57 dst_sel:DWORD dst_unused:UNUSED_PAD src0_sel:WORD_0 src1_sel:DWORD
	v_mul_u32_u24_sdwa v62, v22, v57 dst_sel:DWORD dst_unused:UNUSED_PAD src0_sel:WORD_0 src1_sel:DWORD
	v_or_b32_e32 v37, v56, v37
	v_mul_u32_u24_e32 v51, 48, v51
	v_lshrrev_b32_e32 v58, 4, v21
	v_lshrrev_b32_e32 v56, 21, v60
	;; [unrolled: 1-line block ×4, first 2 shown]
	v_mul_u32_u24_sdwa v61, v21, v57 dst_sel:DWORD dst_unused:UNUSED_PAD src0_sel:WORD_0 src1_sel:DWORD
	v_or_b32_e32 v36, v51, v36
	v_mul_u32_u24_e32 v51, 48, v58
	v_mov_b32_e32 v23, 4
	v_mul_u32_u24_e32 v58, 48, v59
	v_lshrrev_b32_e32 v59, 21, v61
	v_mul_u32_u24_sdwa v57, v39, v57 dst_sel:DWORD dst_unused:UNUSED_PAD src0_sel:WORD_0 src1_sel:DWORD
	v_or_b32_e32 v41, v51, v41
	v_mul_lo_u16 v51, v56, 48
	v_or_b32_e32 v42, v58, v42
	v_mul_lo_u16 v58, v59, 48
	v_lshrrev_b32_e32 v57, 21, v57
	v_lshl_add_u32 v36, v36, 2, 0
	v_sub_nc_u16 v51, v38, v51
	v_lshl_add_u32 v41, v41, 2, 0
	v_sub_nc_u16 v58, v21, v58
	v_mul_lo_u16 v61, v60, 48
	v_lshl_add_u32 v42, v42, 2, 0
	s_waitcnt vmcnt(0) lgkmcnt(0)
	s_barrier
	buffer_gl0_inv
	v_lshl_add_u32 v37, v37, 2, 0
	v_mul_f32_e32 v62, v49, v9
	v_mul_f32_e32 v9, v35, v9
	;; [unrolled: 1-line block ×4, first 2 shown]
	v_fma_f32 v35, v35, v8, -v62
	v_fmac_f32_e32 v9, v49, v8
	v_fma_f32 v34, v34, v10, -v63
	v_mul_f32_e32 v49, v48, v13
	v_fmac_f32_e32 v11, v52, v10
	v_mul_f32_e32 v10, v32, v13
	v_mul_f32_e32 v13, v55, v15
	;; [unrolled: 1-line block ×3, first 2 shown]
	v_fma_f32 v32, v32, v12, -v49
	v_lshlrev_b32_sdwa v8, v23, v51 dst_sel:DWORD dst_unused:UNUSED_PAD src0_sel:DWORD src1_sel:WORD_0
	v_fmac_f32_e32 v10, v48, v12
	v_fma_f32 v12, v33, v14, -v13
	v_fmac_f32_e32 v15, v55, v14
	v_mul_f32_e32 v13, v46, v5
	v_mul_f32_e32 v5, v29, v5
	;; [unrolled: 1-line block ×8, first 2 shown]
	v_fma_f32 v13, v29, v4, -v13
	v_fmac_f32_e32 v5, v46, v4
	v_fma_f32 v4, v31, v6, -v14
	v_fmac_f32_e32 v7, v53, v6
	;; [unrolled: 2-line block ×4, first 2 shown]
	v_add_f32_e32 v2, v24, v35
	v_add_f32_e32 v14, v35, v34
	;; [unrolled: 1-line block ×3, first 2 shown]
	v_sub_f32_e32 v28, v9, v11
	v_add_f32_e32 v9, v9, v11
	v_sub_f32_e32 v30, v35, v34
	v_add_f32_e32 v2, v2, v34
	v_fmac_f32_e32 v24, -0.5, v14
	v_add_f32_e32 v11, v29, v11
	v_add_f32_e32 v14, v13, v4
	v_sub_f32_e32 v29, v5, v7
	v_add_f32_e32 v34, v44, v5
	v_add_f32_e32 v5, v5, v7
	v_add_f32_e32 v33, v32, v12
	v_sub_f32_e32 v35, v10, v15
	v_add_f32_e32 v46, v50, v10
	;; [unrolled: 4-line block ×3, first 2 shown]
	v_add_f32_e32 v1, v1, v3
	v_fmac_f32_e32 v43, -0.5, v9
	v_add_f32_e32 v9, v25, v13
	v_sub_f32_e32 v13, v13, v4
	v_fmac_f32_e32 v25, -0.5, v14
	v_fmac_f32_e32 v44, -0.5, v5
	v_add_f32_e32 v31, v27, v32
	v_sub_f32_e32 v32, v32, v12
	v_add_f32_e32 v47, v26, v6
	v_sub_f32_e32 v6, v6, v0
	v_fmac_f32_e32 v27, -0.5, v33
	v_fmac_f32_e32 v50, -0.5, v10
	;; [unrolled: 1-line block ×4, first 2 shown]
	v_lshlrev_b32_sdwa v52, v23, v58 dst_sel:DWORD dst_unused:UNUSED_PAD src0_sel:DWORD src1_sel:WORD_0
	v_fmamk_f32 v10, v28, 0x3f5db3d7, v24
	v_fmac_f32_e32 v24, 0xbf5db3d7, v28
	v_fmamk_f32 v28, v30, 0xbf5db3d7, v43
	v_fmac_f32_e32 v43, 0x3f5db3d7, v30
	v_add_f32_e32 v4, v9, v4
	v_add_f32_e32 v7, v34, v7
	v_fmamk_f32 v9, v29, 0x3f5db3d7, v25
	v_fmamk_f32 v14, v13, 0xbf5db3d7, v44
	v_fmac_f32_e32 v25, 0xbf5db3d7, v29
	v_fmac_f32_e32 v44, 0x3f5db3d7, v13
	v_add_f32_e32 v12, v31, v12
	v_add_f32_e32 v0, v47, v0
	;; [unrolled: 1-line block ×3, first 2 shown]
	v_fmamk_f32 v1, v35, 0x3f5db3d7, v27
	v_fmamk_f32 v5, v32, 0xbf5db3d7, v50
	;; [unrolled: 1-line block ×4, first 2 shown]
	v_add_f32_e32 v15, v46, v15
	v_fmac_f32_e32 v27, 0xbf5db3d7, v35
	v_fmac_f32_e32 v50, 0x3f5db3d7, v32
	v_fmac_f32_e32 v26, 0xbf5db3d7, v49
	v_fmac_f32_e32 v45, 0x3f5db3d7, v6
	ds_write2_b32 v36, v2, v10 offset1:16
	ds_write_b32 v36, v24 offset:128
	ds_write2_b32 v41, v4, v9 offset1:16
	ds_write_b32 v41, v25 offset:128
	;; [unrolled: 2-line block ×4, first 2 shown]
	s_waitcnt lgkmcnt(0)
	s_barrier
	buffer_gl0_inv
	ds_read_b32 v12, v20
	ds_read_b32 v13, v20 offset:1296
	ds_read_b32 v30, v20 offset:2592
	;; [unrolled: 1-line block ×11, first 2 shown]
	s_waitcnt lgkmcnt(0)
	s_barrier
	buffer_gl0_inv
	ds_write2_b32 v36, v11, v28 offset1:16
	ds_write_b32 v36, v43 offset:128
	ds_write2_b32 v41, v7, v14 offset1:16
	ds_write_b32 v41, v44 offset:128
	;; [unrolled: 2-line block ×4, first 2 shown]
	s_waitcnt lgkmcnt(0)
	s_barrier
	buffer_gl0_inv
	s_clause 0x1
	global_load_dwordx4 v[0:3], v8, s[12:13] offset:256
	global_load_dwordx4 v[4:7], v52, s[12:13] offset:256
	v_mul_lo_u16 v8, v57, 48
	v_sub_nc_u16 v29, v22, v61
	v_mov_b32_e32 v41, 0xe38f
	v_mul_u32_u24_e32 v37, 0x240, v56
	v_mul_u32_u24_e32 v42, 0x240, v59
	v_sub_nc_u16 v36, v39, v8
	v_lshlrev_b32_sdwa v8, v23, v29 dst_sel:DWORD dst_unused:UNUSED_PAD src0_sel:DWORD src1_sel:WORD_0
	v_mul_u32_u24_e32 v43, 0x240, v60
	v_mul_u32_u24_e32 v44, 0x240, v57
	v_lshlrev_b32_sdwa v14, v23, v36 dst_sel:DWORD dst_unused:UNUSED_PAD src0_sel:DWORD src1_sel:WORD_0
	s_clause 0x1
	global_load_dwordx4 v[8:11], v8, s[12:13] offset:256
	global_load_dwordx4 v[25:28], v14, s[12:13] offset:256
	v_mul_u32_u24_sdwa v14, v38, v41 dst_sel:DWORD dst_unused:UNUSED_PAD src0_sel:WORD_0 src1_sel:DWORD
	ds_read_b32 v53, v20 offset:10368
	v_lshrrev_b32_e32 v15, 23, v14
	v_mov_b32_e32 v14, 2
	v_mul_lo_u16 v24, 0x90, v15
	v_lshlrev_b32_sdwa v45, v14, v51 dst_sel:DWORD dst_unused:UNUSED_PAD src0_sel:DWORD src1_sel:WORD_0
	ds_read_b32 v51, v20 offset:5184
	v_lshlrev_b32_sdwa v50, v14, v58 dst_sel:DWORD dst_unused:UNUSED_PAD src0_sel:DWORD src1_sel:WORD_0
	v_lshlrev_b32_sdwa v29, v14, v29 dst_sel:DWORD dst_unused:UNUSED_PAD src0_sel:DWORD src1_sel:WORD_0
	;; [unrolled: 1-line block ×3, first 2 shown]
	v_add3_u32 v37, 0, v37, v45
	ds_read_b32 v45, v20 offset:6480
	v_add3_u32 v42, 0, v42, v50
	v_add3_u32 v43, 0, v43, v29
	;; [unrolled: 1-line block ×3, first 2 shown]
	ds_read_b32 v29, v20 offset:11664
	ds_read_b32 v36, v20 offset:7776
	;; [unrolled: 1-line block ×5, first 2 shown]
	ds_read_b32 v56, v20
	ds_read_b32 v57, v20 offset:1296
	ds_read_b32 v58, v20 offset:2592
	;; [unrolled: 1-line block ×3, first 2 shown]
	v_sub_nc_u16 v24, v38, v24
	s_waitcnt vmcnt(0) lgkmcnt(0)
	s_barrier
	buffer_gl0_inv
	v_lshlrev_b32_sdwa v52, v23, v24 dst_sel:DWORD dst_unused:UNUSED_PAD src0_sel:DWORD src1_sel:WORD_0
	v_lshlrev_b32_sdwa v24, v14, v24 dst_sel:DWORD dst_unused:UNUSED_PAD src0_sel:DWORD src1_sel:WORD_0
	v_mul_f32_e32 v60, v51, v1
	v_mul_f32_e32 v1, v34, v1
	;; [unrolled: 1-line block ×6, first 2 shown]
	v_fma_f32 v34, v34, v0, -v60
	v_fmac_f32_e32 v1, v51, v0
	v_mul_f32_e32 v0, v29, v7
	v_fma_f32 v46, v46, v2, -v61
	v_mul_f32_e32 v7, v47, v7
	v_fmac_f32_e32 v3, v53, v2
	v_fma_f32 v33, v33, v4, -v62
	v_fmac_f32_e32 v5, v45, v4
	v_fma_f32 v0, v47, v6, -v0
	v_mul_f32_e32 v2, v36, v9
	v_mul_f32_e32 v51, v54, v11
	;; [unrolled: 1-line block ×8, first 2 shown]
	v_fmac_f32_e32 v7, v29, v6
	v_fma_f32 v2, v31, v8, -v2
	v_fma_f32 v6, v48, v10, -v51
	v_fmac_f32_e32 v9, v36, v8
	v_fmac_f32_e32 v11, v54, v10
	v_fma_f32 v8, v32, v25, -v53
	v_fmac_f32_e32 v26, v50, v25
	v_fma_f32 v4, v49, v27, -v4
	v_add_f32_e32 v25, v34, v46
	v_add_f32_e32 v10, v12, v34
	v_sub_f32_e32 v31, v34, v46
	v_add_f32_e32 v34, v33, v0
	v_fmac_f32_e32 v28, v55, v27
	v_add_f32_e32 v48, v2, v6
	v_sub_f32_e32 v27, v1, v3
	v_add_f32_e32 v29, v56, v1
	v_add_f32_e32 v1, v1, v3
	v_sub_f32_e32 v49, v9, v11
	v_add_f32_e32 v50, v58, v9
	v_add_f32_e32 v9, v9, v11
	;; [unrolled: 1-line block ×3, first 2 shown]
	v_fmac_f32_e32 v12, -0.5, v25
	v_add_f32_e32 v32, v13, v33
	v_sub_f32_e32 v36, v5, v7
	v_add_f32_e32 v45, v57, v5
	v_add_f32_e32 v5, v5, v7
	v_fmac_f32_e32 v13, -0.5, v34
	v_add_f32_e32 v47, v30, v2
	v_sub_f32_e32 v54, v26, v28
	v_add_f32_e32 v55, v59, v26
	v_add_f32_e32 v26, v26, v28
	v_fmac_f32_e32 v30, -0.5, v48
	v_sub_f32_e32 v2, v2, v6
	v_add_f32_e32 v51, v35, v8
	v_add_f32_e32 v10, v10, v46
	v_fmac_f32_e32 v56, -0.5, v1
	v_fmac_f32_e32 v58, -0.5, v9
	;; [unrolled: 1-line block ×3, first 2 shown]
	v_fmamk_f32 v9, v27, 0x3f5db3d7, v12
	v_fmac_f32_e32 v12, 0xbf5db3d7, v27
	v_sub_f32_e32 v33, v33, v0
	v_add_f32_e32 v0, v32, v0
	v_fmac_f32_e32 v57, -0.5, v5
	v_fmamk_f32 v25, v36, 0x3f5db3d7, v13
	v_fmac_f32_e32 v13, 0xbf5db3d7, v36
	v_sub_f32_e32 v8, v8, v4
	v_add_f32_e32 v5, v47, v6
	v_fmac_f32_e32 v59, -0.5, v26
	v_fmamk_f32 v27, v49, 0x3f5db3d7, v30
	v_add_f32_e32 v3, v29, v3
	v_add_f32_e32 v1, v45, v7
	;; [unrolled: 1-line block ×4, first 2 shown]
	v_fmamk_f32 v11, v31, 0xbf5db3d7, v56
	v_fmac_f32_e32 v30, 0xbf5db3d7, v49
	v_fmamk_f32 v45, v2, 0xbf5db3d7, v58
	v_fmac_f32_e32 v58, 0x3f5db3d7, v2
	;; [unrolled: 2-line block ×3, first 2 shown]
	ds_write2_b32 v37, v10, v9 offset1:48
	ds_write_b32 v37, v12 offset:384
	ds_write2_b32 v42, v0, v25 offset1:48
	ds_write_b32 v42, v13 offset:384
	;; [unrolled: 2-line block ×4, first 2 shown]
	v_mul_u32_u24_sdwa v0, v21, v41 dst_sel:DWORD dst_unused:UNUSED_PAD src0_sel:WORD_0 src1_sel:DWORD
	v_fmac_f32_e32 v56, 0x3f5db3d7, v31
	v_fmamk_f32 v26, v33, 0xbf5db3d7, v57
	v_fmac_f32_e32 v57, 0x3f5db3d7, v33
	v_fmamk_f32 v46, v8, 0xbf5db3d7, v59
	v_add_f32_e32 v7, v55, v28
	v_fmac_f32_e32 v59, 0x3f5db3d7, v8
	s_waitcnt lgkmcnt(0)
	s_barrier
	buffer_gl0_inv
	ds_read_b32 v29, v20
	ds_read_b32 v28, v20 offset:1296
	ds_read_b32 v27, v20 offset:2592
	;; [unrolled: 1-line block ×11, first 2 shown]
	s_waitcnt lgkmcnt(0)
	s_barrier
	buffer_gl0_inv
	ds_write2_b32 v37, v3, v11 offset1:48
	ds_write_b32 v37, v56 offset:384
	ds_write2_b32 v42, v1, v26 offset1:48
	ds_write_b32 v42, v57 offset:384
	;; [unrolled: 2-line block ×4, first 2 shown]
	v_lshrrev_b32_e32 v46, 23, v0
	s_waitcnt lgkmcnt(0)
	s_barrier
	buffer_gl0_inv
	global_load_dwordx4 v[42:45], v52, s[12:13] offset:1024
	v_mul_lo_u16 v0, 0x90, v46
	ds_read_b32 v52, v20 offset:5184
	ds_read_b32 v55, v20 offset:10368
	v_lshlrev_b32_e32 v12, 1, v38
	v_mov_b32_e32 v53, 0x12f7
	v_sub_nc_u16 v37, v21, v0
	v_mul_u32_u24_sdwa v0, v22, v41 dst_sel:DWORD dst_unused:UNUSED_PAD src0_sel:WORD_0 src1_sel:DWORD
	v_lshrrev_b16 v25, 4, v39
	v_mov_b32_e32 v13, 0
	v_lshrrev_b16 v54, 4, v22
	v_lshlrev_b32_sdwa v1, v23, v37 dst_sel:DWORD dst_unused:UNUSED_PAD src0_sel:DWORD src1_sel:WORD_0
	v_lshrrev_b32_e32 v49, 23, v0
	v_mul_u32_u24_sdwa v0, v39, v41 dst_sel:DWORD dst_unused:UNUSED_PAD src0_sel:WORD_0 src1_sel:DWORD
	v_mul_u32_u24_sdwa v57, v25, v53 dst_sel:DWORD dst_unused:UNUSED_PAD src0_sel:WORD_0 src1_sel:DWORD
	v_lshlrev_b64 v[25:26], 3, v[12:13]
	global_load_dwordx4 v[8:11], v1, s[12:13] offset:1024
	v_mul_lo_u16 v1, 0x90, v49
	v_lshrrev_b32_e32 v50, 23, v0
	v_add_nc_u32_e32 v56, 0xffffff94, v38
	v_mul_u32_u24_sdwa v53, v54, v53 dst_sel:DWORD dst_unused:UNUSED_PAD src0_sel:WORD_0 src1_sel:DWORD
	v_add_co_u32 v25, s0, s12, v25
	v_sub_nc_u16 v41, v22, v1
	v_mul_lo_u16 v0, 0x90, v50
	v_add_co_ci_u32_e64 v26, s0, s13, v26, s0
	v_cmp_gt_u32_e64 s0, 0x6c, v38
	v_lshlrev_b32_sdwa v1, v23, v41 dst_sel:DWORD dst_unused:UNUSED_PAD src0_sel:DWORD src1_sel:WORD_0
	v_sub_nc_u16 v51, v39, v0
	v_mul_u32_u24_e32 v49, 0x6c0, v49
	v_mul_u32_u24_e32 v50, 0x6c0, v50
	v_lshlrev_b32_sdwa v37, v14, v37 dst_sel:DWORD dst_unused:UNUSED_PAD src0_sel:DWORD src1_sel:WORD_0
	global_load_dwordx4 v[4:7], v1, s[12:13] offset:1024
	v_lshlrev_b32_sdwa v0, v23, v51 dst_sel:DWORD dst_unused:UNUSED_PAD src0_sel:DWORD src1_sel:WORD_0
	v_lshlrev_b32_sdwa v41, v14, v41 dst_sel:DWORD dst_unused:UNUSED_PAD src0_sel:DWORD src1_sel:WORD_0
	;; [unrolled: 1-line block ×3, first 2 shown]
	global_load_dwordx4 v[0:3], v0, s[12:13] offset:1024
	ds_read_b32 v54, v20 offset:6480
	ds_read_b32 v58, v20 offset:7776
	;; [unrolled: 1-line block ×7, first 2 shown]
	s_waitcnt vmcnt(3) lgkmcnt(8)
	v_mul_f32_e32 v12, v52, v43
	v_mul_f32_e32 v61, v47, v43
	v_fma_f32 v47, v47, v42, -v12
	v_fmac_f32_e32 v61, v52, v42
	s_waitcnt lgkmcnt(7)
	v_mul_f32_e32 v12, v55, v45
	v_cndmask_b32_e64 v52, v56, v21, s0
	v_fma_f32 v56, v48, v44, -v12
	v_lshlrev_b32_e32 v12, 1, v52
	v_mul_f32_e32 v48, v48, v45
	v_lshrrev_b32_e32 v45, 17, v57
	v_lshlrev_b64 v[42:43], 3, v[12:13]
	v_mul_u32_u24_e32 v12, 0x6c0, v15
	v_mul_u32_u24_e32 v15, 0x6c0, v46
	v_lshrrev_b32_e32 v46, 17, v53
	v_fmac_f32_e32 v48, v55, v44
	v_mul_lo_u16 v53, 0x1b0, v45
	v_add3_u32 v12, 0, v12, v24
	v_add3_u32 v15, 0, v15, v37
	;; [unrolled: 1-line block ×4, first 2 shown]
	s_waitcnt vmcnt(2) lgkmcnt(6)
	v_mul_f32_e32 v41, v54, v9
	s_waitcnt lgkmcnt(2)
	v_mul_f32_e32 v50, v62, v11
	v_mul_f32_e32 v11, v35, v11
	;; [unrolled: 1-line block ×3, first 2 shown]
	v_mul_lo_u16 v55, 0x1b0, v46
	v_fma_f32 v36, v36, v8, -v41
	v_fma_f32 v35, v35, v10, -v50
	v_fmac_f32_e32 v11, v62, v10
	ds_read_b32 v10, v20
	ds_read_b32 v41, v20 offset:1296
	ds_read_b32 v50, v20 offset:2592
	v_fmac_f32_e32 v9, v54, v8
	s_waitcnt vmcnt(1)
	v_mul_f32_e32 v51, v58, v5
	v_mul_f32_e32 v5, v33, v5
	s_waitcnt lgkmcnt(4)
	v_mul_f32_e32 v54, v63, v7
	v_mul_f32_e32 v7, v34, v7
	v_sub_nc_u16 v55, v22, v55
	v_fma_f32 v33, v33, v4, -v51
	v_fmac_f32_e32 v5, v58, v4
	s_waitcnt vmcnt(0)
	v_mul_f32_e32 v4, v59, v1
	v_fma_f32 v34, v34, v6, -v54
	v_mul_f32_e32 v1, v31, v1
	v_fmac_f32_e32 v7, v63, v6
	s_waitcnt lgkmcnt(3)
	v_mul_f32_e32 v6, v64, v3
	v_mul_f32_e32 v3, v32, v3
	v_add_co_u32 v44, s0, s12, v42
	v_fma_f32 v4, v31, v0, -v4
	v_fmac_f32_e32 v1, v59, v0
	v_fma_f32 v0, v32, v2, -v6
	v_fmac_f32_e32 v3, v64, v2
	v_add_f32_e32 v2, v29, v47
	v_add_f32_e32 v6, v47, v56
	s_waitcnt lgkmcnt(2)
	v_add_f32_e32 v32, v10, v61
	v_add_f32_e32 v51, v61, v48
	;; [unrolled: 1-line block ×3, first 2 shown]
	v_add_co_ci_u32_e64 v45, s0, s13, v43, s0
	v_sub_nc_u16 v53, v39, v53
	v_add_co_u32 v42, s0, 0x800, v25
	v_add_f32_e32 v57, v36, v35
	v_lshlrev_b32_sdwa v23, v23, v55 dst_sel:DWORD dst_unused:UNUSED_PAD src0_sel:DWORD src1_sel:WORD_0
	v_sub_f32_e32 v58, v9, v11
	s_waitcnt lgkmcnt(1)
	v_add_f32_e32 v59, v41, v9
	v_add_f32_e32 v9, v9, v11
	v_add_co_ci_u32_e64 v43, s0, 0, v26, s0
	v_add_f32_e32 v62, v33, v34
	v_add_co_u32 v44, s0, 0x800, v44
	v_sub_f32_e32 v31, v61, v48
	v_sub_f32_e32 v47, v47, v56
	;; [unrolled: 1-line block ×4, first 2 shown]
	v_add_f32_e32 v2, v2, v56
	s_waitcnt lgkmcnt(0)
	v_add_f32_e32 v56, v50, v5
	v_add_f32_e32 v5, v5, v7
	v_fmac_f32_e32 v29, -0.5, v6
	v_add_f32_e32 v32, v32, v48
	v_add_f32_e32 v48, v4, v0
	v_fmac_f32_e32 v10, -0.5, v51
	v_sub_f32_e32 v51, v1, v3
	v_add_f32_e32 v35, v54, v35
	v_add_f32_e32 v54, v60, v1
	;; [unrolled: 1-line block ×3, first 2 shown]
	v_and_b32_e32 v53, 0xffff, v53
	v_add_co_ci_u32_e64 v45, s0, 0, v45, s0
	v_add_f32_e32 v6, v30, v4
	v_fmac_f32_e32 v28, -0.5, v57
	v_add_co_u32 v8, s0, s12, v23
	v_fmac_f32_e32 v41, -0.5, v9
	v_add_f32_e32 v61, v27, v33
	v_fmac_f32_e32 v27, -0.5, v62
	v_add_co_ci_u32_e64 v23, null, s13, 0, s0
	v_sub_f32_e32 v33, v33, v34
	v_fmac_f32_e32 v50, -0.5, v5
	v_fmac_f32_e32 v30, -0.5, v48
	;; [unrolled: 1-line block ×3, first 2 shown]
	v_fmamk_f32 v1, v31, 0x3f5db3d7, v29
	v_lshlrev_b32_e32 v49, 4, v53
	v_sub_f32_e32 v4, v4, v0
	v_fmac_f32_e32 v29, 0xbf5db3d7, v31
	v_fmamk_f32 v5, v47, 0xbf5db3d7, v10
	v_add_f32_e32 v0, v6, v0
	v_fmac_f32_e32 v10, 0x3f5db3d7, v47
	v_fmamk_f32 v6, v58, 0x3f5db3d7, v28
	v_add_f32_e32 v11, v59, v11
	v_fmac_f32_e32 v28, 0xbf5db3d7, v58
	v_fmamk_f32 v31, v36, 0xbf5db3d7, v41
	v_add_co_u32 v8, s0, 0x800, v8
	v_add_f32_e32 v9, v61, v34
	v_fmac_f32_e32 v41, 0x3f5db3d7, v36
	v_fmamk_f32 v34, v63, 0x3f5db3d7, v27
	s_barrier
	buffer_gl0_inv
	v_add_f32_e32 v7, v56, v7
	v_fmac_f32_e32 v27, 0xbf5db3d7, v63
	v_fmamk_f32 v36, v33, 0xbf5db3d7, v50
	v_fmac_f32_e32 v50, 0x3f5db3d7, v33
	v_fmamk_f32 v33, v51, 0x3f5db3d7, v30
	v_fmac_f32_e32 v30, 0xbf5db3d7, v51
	ds_write2_b32 v12, v2, v1 offset1:144
	ds_write_b32 v12, v29 offset:1152
	ds_write2_b32 v15, v35, v6 offset1:144
	ds_write_b32 v15, v28 offset:1152
	;; [unrolled: 2-line block ×4, first 2 shown]
	v_add_co_ci_u32_e64 v9, s0, 0, v23, s0
	v_add_f32_e32 v3, v54, v3
	v_fmamk_f32 v47, v4, 0xbf5db3d7, v60
	v_fmac_f32_e32 v60, 0x3f5db3d7, v4
	s_waitcnt lgkmcnt(0)
	s_barrier
	buffer_gl0_inv
	ds_read_b32 v33, v20
	ds_read_b32 v34, v20 offset:1296
	ds_read_b32 v35, v20 offset:2592
	;; [unrolled: 1-line block ×11, first 2 shown]
	s_waitcnt lgkmcnt(0)
	s_barrier
	buffer_gl0_inv
	ds_write2_b32 v12, v32, v5 offset1:144
	ds_write_b32 v12, v10 offset:1152
	ds_write2_b32 v15, v11, v31 offset1:144
	ds_write_b32 v15, v41 offset:1152
	;; [unrolled: 2-line block ×4, first 2 shown]
	v_add_co_u32 v12, s0, s12, v49
	v_add_co_ci_u32_e64 v15, null, s13, 0, s0
	s_waitcnt lgkmcnt(0)
	v_add_co_u32 v23, s0, 0x800, v12
	s_barrier
	buffer_gl0_inv
	s_clause 0x1
	global_load_dwordx4 v[0:3], v[42:43], off offset:1280
	global_load_dwordx4 v[4:7], v[44:45], off offset:1280
	v_add_co_ci_u32_e64 v24, s0, 0, v15, s0
	global_load_dwordx4 v[8:11], v[8:9], off offset:1280
	v_cmp_lt_u32_e64 s0, 0x6b, v38
	v_lshlrev_b32_e32 v15, 2, v52
	global_load_dwordx4 v[27:30], v[23:24], off offset:1280
	ds_read_b32 v23, v20 offset:5184
	ds_read_b32 v31, v20 offset:10368
	v_cndmask_b32_e64 v12, 0, 0x1440, s0
	v_mul_u32_u24_e32 v24, 0x1440, v46
	v_lshlrev_b32_sdwa v14, v14, v55 dst_sel:DWORD dst_unused:UNUSED_PAD src0_sel:DWORD src1_sel:WORD_0
	v_lshl_add_u32 v36, v53, 2, 0
	v_add3_u32 v12, 0, v12, v15
	ds_read_b32 v15, v20 offset:11664
	ds_read_b32 v32, v20 offset:6480
	v_add3_u32 v37, 0, v24, v14
	ds_read_b32 v14, v20 offset:7776
	ds_read_b32 v41, v20
	ds_read_b32 v42, v20 offset:1296
	ds_read_b32 v43, v20 offset:2592
	;; [unrolled: 1-line block ×6, first 2 shown]
	s_waitcnt vmcnt(0) lgkmcnt(0)
	s_barrier
	buffer_gl0_inv
	v_mul_f32_e32 v47, v23, v1
	v_mul_f32_e32 v1, v56, v1
	;; [unrolled: 1-line block ×8, first 2 shown]
	v_fma_f32 v47, v56, v0, -v47
	v_mul_f32_e32 v53, v14, v9
	v_fmac_f32_e32 v1, v23, v0
	v_mul_f32_e32 v0, v48, v9
	v_fma_f32 v9, v58, v2, -v49
	v_mul_f32_e32 v23, v24, v11
	v_fmac_f32_e32 v3, v31, v2
	v_mul_f32_e32 v2, v61, v11
	v_mul_f32_e32 v11, v44, v28
	;; [unrolled: 1-line block ×5, first 2 shown]
	v_fma_f32 v49, v54, v4, -v50
	v_fmac_f32_e32 v5, v32, v4
	v_fma_f32 v4, v59, v6, -v52
	v_fmac_f32_e32 v7, v15, v6
	;; [unrolled: 2-line block ×4, first 2 shown]
	v_fma_f32 v10, v51, v27, -v11
	v_fma_f32 v11, v62, v29, -v31
	v_add_f32_e32 v15, v47, v9
	v_fmac_f32_e32 v28, v44, v27
	v_fmac_f32_e32 v30, v45, v29
	v_add_f32_e32 v29, v34, v49
	v_add_f32_e32 v31, v49, v4
	v_sub_f32_e32 v45, v49, v4
	v_add_f32_e32 v48, v6, v8
	v_sub_f32_e32 v49, v0, v2
	v_add_f32_e32 v50, v43, v0
	v_add_f32_e32 v0, v0, v2
	;; [unrolled: 1-line block ×4, first 2 shown]
	v_sub_f32_e32 v23, v1, v3
	v_sub_f32_e32 v32, v5, v7
	v_add_f32_e32 v44, v42, v5
	v_add_f32_e32 v5, v5, v7
	v_fmac_f32_e32 v33, -0.5, v15
	v_add_f32_e32 v24, v41, v1
	v_add_f32_e32 v1, v1, v3
	v_sub_f32_e32 v27, v47, v9
	v_add_f32_e32 v47, v35, v6
	v_sub_f32_e32 v6, v6, v8
	v_add_f32_e32 v51, v57, v10
	v_sub_f32_e32 v53, v28, v30
	v_fmac_f32_e32 v34, -0.5, v31
	v_fmac_f32_e32 v35, -0.5, v48
	v_fmac_f32_e32 v43, -0.5, v0
	v_fmac_f32_e32 v57, -0.5, v52
	v_add_f32_e32 v9, v14, v9
	v_fmac_f32_e32 v42, -0.5, v5
	v_fmamk_f32 v5, v23, 0x3f5db3d7, v33
	v_fmac_f32_e32 v33, 0xbf5db3d7, v23
	v_fmac_f32_e32 v41, -0.5, v1
	v_add_f32_e32 v1, v29, v4
	v_add_f32_e32 v29, v44, v7
	v_add_f32_e32 v4, v47, v8
	v_fmamk_f32 v7, v32, 0x3f5db3d7, v34
	v_fmamk_f32 v8, v49, 0x3f5db3d7, v35
	;; [unrolled: 1-line block ×3, first 2 shown]
	v_fmac_f32_e32 v43, 0x3f5db3d7, v6
	v_fmamk_f32 v6, v53, 0x3f5db3d7, v57
	v_sub_f32_e32 v55, v10, v11
	v_add_f32_e32 v3, v24, v3
	v_add_f32_e32 v0, v51, v11
	v_fmac_f32_e32 v34, 0xbf5db3d7, v32
	v_fmac_f32_e32 v35, 0xbf5db3d7, v49
	;; [unrolled: 1-line block ×3, first 2 shown]
	ds_write_b32 v20, v9
	ds_write_b32 v20, v5 offset:1728
	ds_write_b32 v20, v33 offset:3456
	ds_write_b32 v12, v1
	ds_write_b32 v12, v7 offset:1728
	ds_write_b32 v12, v34 offset:3456
	;; [unrolled: 3-line block ×3, first 2 shown]
	ds_write_b32 v36, v0 offset:10368
	ds_write_b32 v36, v6 offset:12096
	;; [unrolled: 1-line block ×3, first 2 shown]
	s_waitcnt lgkmcnt(0)
	s_barrier
	buffer_gl0_inv
	ds_read_b32 v11, v20
	ds_read_b32 v4, v20 offset:1296
	ds_read_b32 v5, v20 offset:2592
	;; [unrolled: 1-line block ×11, first 2 shown]
	v_add_f32_e32 v54, v46, v28
	v_add_f32_e32 v28, v28, v30
	;; [unrolled: 1-line block ×3, first 2 shown]
	s_waitcnt lgkmcnt(0)
	s_barrier
	v_add_f32_e32 v30, v54, v30
	v_fmac_f32_e32 v46, -0.5, v28
	v_fmamk_f32 v28, v27, 0xbf5db3d7, v41
	v_fmac_f32_e32 v41, 0x3f5db3d7, v27
	v_fmamk_f32 v27, v45, 0xbf5db3d7, v42
	v_fmac_f32_e32 v42, 0x3f5db3d7, v45
	;; [unrolled: 2-line block ×3, first 2 shown]
	buffer_gl0_inv
	ds_write_b32 v20, v3
	ds_write_b32 v20, v28 offset:1728
	ds_write_b32 v20, v41 offset:3456
	ds_write_b32 v12, v29
	ds_write_b32 v12, v27 offset:1728
	ds_write_b32 v12, v42 offset:3456
	;; [unrolled: 3-line block ×3, first 2 shown]
	ds_write_b32 v36, v30 offset:10368
	ds_write_b32 v36, v32 offset:12096
	;; [unrolled: 1-line block ×3, first 2 shown]
	s_waitcnt lgkmcnt(0)
	s_barrier
	buffer_gl0_inv
	s_and_saveexec_b32 s0, vcc_lo
	s_cbranch_execz .LBB0_17
; %bb.16:
	v_lshlrev_b32_e32 v12, 1, v39
	v_add_co_u32 v0, vcc_lo, 0x2800, v25
	v_add_co_ci_u32_e32 v1, vcc_lo, 0, v26, vcc_lo
	v_lshlrev_b64 v[25:26], 3, v[12:13]
	v_lshlrev_b32_e32 v12, 1, v22
	v_add_nc_u32_e32 v54, 0x510, v38
	global_load_dwordx4 v[0:3], v[0:1], off
	v_mul_lo_u32 v37, s5, v18
	v_mul_lo_u32 v51, s4, v19
	v_add_co_u32 v25, vcc_lo, s12, v25
	v_add_co_ci_u32_e32 v26, vcc_lo, s13, v26, vcc_lo
	v_lshlrev_b64 v[29:30], 3, v[12:13]
	v_add_co_u32 v25, vcc_lo, 0x2800, v25
	v_lshlrev_b32_e32 v12, 1, v21
	v_add_co_ci_u32_e32 v26, vcc_lo, 0, v26, vcc_lo
	v_add_co_u32 v29, vcc_lo, s12, v29
	v_add_co_ci_u32_e32 v30, vcc_lo, s13, v30, vcc_lo
	v_lshlrev_b64 v[12:13], 3, v[12:13]
	v_add_co_u32 v29, vcc_lo, 0x2800, v29
	v_add_co_ci_u32_e32 v30, vcc_lo, 0, v30, vcc_lo
	global_load_dwordx4 v[25:28], v[25:26], off
	v_add_co_u32 v12, vcc_lo, s12, v12
	global_load_dwordx4 v[29:32], v[29:30], off
	v_add_co_ci_u32_e32 v13, vcc_lo, s13, v13, vcc_lo
	v_add_co_u32 v12, vcc_lo, 0x2800, v12
	v_add_nc_u32_e32 v55, 0xa20, v38
	v_add_co_ci_u32_e32 v13, vcc_lo, 0, v13, vcc_lo
	v_mad_u64_u32 v[41:42], null, s2, v21, 0
	v_add_nc_u32_e32 v56, 0x654, v38
	global_load_dwordx4 v[33:36], v[12:13], off
	v_mad_u64_u32 v[12:13], null, s4, v18, 0
	v_mad_u64_u32 v[43:44], null, s2, v40, 0
	v_mul_hi_u32 v52, 0xca4587e7, v22
	v_mul_hi_u32 v53, 0xca4587e7, v39
	v_mad_u64_u32 v[18:19], null, s2, v38, 0
	v_mad_u64_u32 v[45:46], null, s2, v54, 0
	;; [unrolled: 1-line block ×4, first 2 shown]
	v_add3_u32 v13, v13, v51, v37
	v_mov_b32_e32 v37, v42
	v_mov_b32_e32 v42, v44
	v_lshrrev_b32_e32 v44, 10, v52
	v_lshrrev_b32_e32 v57, 10, v53
	v_mad_u64_u32 v[51:52], null, s3, v38, v[19:20]
	v_mov_b32_e32 v19, v46
	v_mad_u64_u32 v[37:38], null, s3, v21, v[37:38]
	v_mad_u32_u24 v61, 0xa20, v44, v22
	v_mov_b32_e32 v21, v48
	v_mov_b32_e32 v22, v50
	v_lshlrev_b64 v[12:13], 3, v[12:13]
	v_mad_u32_u24 v67, 0xa20, v57, v39
	v_mad_u64_u32 v[38:39], null, s3, v54, v[19:20]
	v_lshlrev_b64 v[16:17], 3, v[16:17]
	v_mad_u64_u32 v[52:53], null, s3, v40, v[42:43]
	v_mad_u64_u32 v[39:40], null, s3, v55, v[21:22]
	;; [unrolled: 1-line block ×5, first 2 shown]
	v_add_co_u32 v22, vcc_lo, s10, v12
	v_add_nc_u32_e32 v70, 0x510, v67
	v_add_co_ci_u32_e32 v40, vcc_lo, s11, v13, vcc_lo
	v_mov_b32_e32 v19, v51
	v_add_nc_u32_e32 v69, 0xa20, v61
	v_add_nc_u32_e32 v71, 0xa20, v67
	v_mov_b32_e32 v42, v37
	v_add_co_u32 v72, vcc_lo, v22, v16
	v_add_nc_u32_e32 v68, 0x510, v61
	v_mad_u64_u32 v[57:58], null, s2, v70, 0
	v_add_co_ci_u32_e32 v73, vcc_lo, v40, v17, vcc_lo
	v_lshlrev_b64 v[16:17], 3, v[18:19]
	v_mov_b32_e32 v44, v52
	v_mad_u64_u32 v[51:52], null, s2, v69, 0
	v_mad_u64_u32 v[59:60], null, s2, v71, 0
	v_mov_b32_e32 v18, v54
	v_mov_b32_e32 v19, v56
	;; [unrolled: 1-line block ×4, first 2 shown]
	v_lshlrev_b64 v[21:22], 3, v[41:42]
	v_mov_b32_e32 v48, v39
	v_mad_u64_u32 v[12:13], null, s2, v68, 0
	v_lshlrev_b64 v[37:38], 3, v[43:44]
	v_mad_u64_u32 v[39:40], null, s3, v61, v[18:19]
	v_add_co_u32 v16, vcc_lo, v72, v16
	v_lshlrev_b64 v[40:41], 3, v[45:46]
	v_lshlrev_b64 v[45:46], 3, v[49:50]
	v_mov_b32_e32 v44, v58
	v_add_co_ci_u32_e32 v17, vcc_lo, v73, v17, vcc_lo
	v_lshlrev_b64 v[42:43], 3, v[47:48]
	v_mov_b32_e32 v18, v52
	v_mad_u64_u32 v[47:48], null, s3, v67, v[19:20]
	v_add_co_u32 v21, vcc_lo, v72, v21
	v_mov_b32_e32 v19, v60
	ds_read_b32 v62, v20 offset:10368
	v_add_co_ci_u32_e32 v22, vcc_lo, v73, v22, vcc_lo
	v_add_co_u32 v37, vcc_lo, v72, v37
	v_mad_u64_u32 v[48:49], null, s3, v68, v[13:14]
	v_mad_u64_u32 v[60:61], null, s3, v70, v[44:45]
	ds_read_b32 v63, v20
	ds_read_b32 v64, v20 offset:9072
	ds_read_b32 v65, v20 offset:7776
	;; [unrolled: 1-line block ×3, first 2 shown]
	v_add_co_ci_u32_e32 v38, vcc_lo, v73, v38, vcc_lo
	v_mad_u64_u32 v[49:50], null, s3, v69, v[18:19]
	ds_read_b32 v61, v20 offset:14256
	ds_read_b32 v67, v20 offset:12960
	;; [unrolled: 1-line block ×3, first 2 shown]
	v_mad_u64_u32 v[18:19], null, s3, v71, v[19:20]
	v_mov_b32_e32 v54, v39
	ds_read_b32 v39, v20 offset:5184
	ds_read_b32 v69, v20 offset:3888
	;; [unrolled: 1-line block ×4, first 2 shown]
	v_add_co_u32 v40, vcc_lo, v72, v40
	v_add_co_ci_u32_e32 v41, vcc_lo, v73, v41, vcc_lo
	v_add_co_u32 v42, vcc_lo, v72, v42
	v_mov_b32_e32 v56, v47
	v_add_co_ci_u32_e32 v43, vcc_lo, v73, v43, vcc_lo
	v_lshlrev_b64 v[19:20], 3, v[53:54]
	v_add_co_u32 v44, vcc_lo, v72, v45
	v_mov_b32_e32 v13, v48
	v_add_co_ci_u32_e32 v45, vcc_lo, v73, v46, vcc_lo
	v_lshlrev_b64 v[46:47], 3, v[55:56]
	v_mov_b32_e32 v52, v49
	v_mov_b32_e32 v58, v60
	;; [unrolled: 1-line block ×3, first 2 shown]
	v_lshlrev_b64 v[12:13], 3, v[12:13]
	v_add_co_u32 v18, vcc_lo, v72, v19
	v_add_co_ci_u32_e32 v19, vcc_lo, v73, v20, vcc_lo
	v_lshlrev_b64 v[48:49], 3, v[51:52]
	v_add_co_u32 v46, vcc_lo, v72, v46
	v_add_co_ci_u32_e32 v47, vcc_lo, v73, v47, vcc_lo
	;; [unrolled: 3-line block ×4, first 2 shown]
	v_add_co_u32 v50, vcc_lo, v72, v50
	v_add_co_ci_u32_e32 v51, vcc_lo, v73, v51, vcc_lo
	s_waitcnt vmcnt(3) lgkmcnt(3)
	v_mul_f32_e32 v20, v1, v39
	v_mul_f32_e32 v39, v0, v39
	;; [unrolled: 1-line block ×4, first 2 shown]
	v_fma_f32 v20, v23, v0, -v20
	v_fmac_f32_e32 v39, v23, v1
	v_fma_f32 v2, v24, v2, -v54
	v_fmac_f32_e32 v55, v24, v3
	v_add_co_u32 v0, vcc_lo, v72, v52
	v_add_f32_e32 v3, v39, v63
	v_add_f32_e32 v23, v11, v20
	;; [unrolled: 1-line block ×4, first 2 shown]
	v_add_co_ci_u32_e32 v1, vcc_lo, v73, v53, vcc_lo
	v_sub_f32_e32 v20, v20, v2
	v_sub_f32_e32 v39, v39, v55
	v_add_f32_e32 v3, v55, v3
	v_add_f32_e32 v2, v23, v2
	v_fma_f32 v24, -0.5, v24, v63
	v_fma_f32 v23, -0.5, v52, v11
	s_waitcnt vmcnt(2)
	v_mul_f32_e32 v11, v26, v64
	v_mul_f32_e32 v52, v25, v64
	;; [unrolled: 1-line block ×4, first 2 shown]
	global_store_dwordx2 v[16:17], v[2:3], off
	v_fmamk_f32 v3, v20, 0x3f5db3d7, v24
	v_fmamk_f32 v2, v39, 0xbf5db3d7, v23
	v_fmac_f32_e32 v24, 0xbf5db3d7, v20
	v_fmac_f32_e32 v23, 0x3f5db3d7, v39
	v_fma_f32 v11, v14, v25, -v11
	v_fmac_f32_e32 v52, v14, v26
	v_fma_f32 v14, v15, v27, -v53
	v_fmac_f32_e32 v54, v15, v28
	s_waitcnt vmcnt(1)
	v_mul_f32_e32 v15, v30, v65
	v_mul_f32_e32 v16, v32, v67
	v_mul_f32_e32 v17, v29, v65
	v_mul_f32_e32 v20, v31, v67
	global_store_dwordx2 v[40:41], v[23:24], off
	global_store_dwordx2 v[42:43], v[2:3], off
	v_sub_f32_e32 v23, v11, v14
	v_add_f32_e32 v2, v52, v54
	v_add_f32_e32 v24, v11, v14
	s_waitcnt lgkmcnt(2)
	v_add_f32_e32 v26, v52, v69
	v_add_f32_e32 v11, v8, v11
	v_fma_f32 v15, v9, v29, -v15
	v_fma_f32 v16, v10, v31, -v16
	v_fmac_f32_e32 v17, v9, v30
	v_fmac_f32_e32 v20, v10, v32
	s_waitcnt vmcnt(0)
	v_mul_f32_e32 v10, v34, v66
	v_mul_f32_e32 v27, v36, v68
	;; [unrolled: 1-line block ×4, first 2 shown]
	v_fma_f32 v3, -0.5, v2, v69
	v_fma_f32 v2, -0.5, v24, v8
	v_add_f32_e32 v9, v54, v26
	v_add_f32_e32 v8, v11, v14
	;; [unrolled: 1-line block ×4, first 2 shown]
	v_sub_f32_e32 v31, v17, v20
	s_waitcnt lgkmcnt(1)
	v_add_f32_e32 v17, v17, v70
	v_fma_f32 v26, v6, v33, -v10
	v_fma_f32 v27, v7, v35, -v27
	v_fmac_f32_e32 v28, v6, v34
	v_fmac_f32_e32 v29, v7, v36
	v_sub_f32_e32 v25, v52, v54
	v_sub_f32_e32 v30, v15, v16
	v_add_f32_e32 v24, v5, v15
	v_fma_f32 v10, -0.5, v14, v5
	v_add_f32_e32 v15, v20, v17
	v_add_f32_e32 v5, v28, v29
	;; [unrolled: 1-line block ×3, first 2 shown]
	v_fmamk_f32 v7, v23, 0x3f5db3d7, v3
	v_fmamk_f32 v6, v25, 0xbf5db3d7, v2
	v_fmac_f32_e32 v3, 0xbf5db3d7, v23
	v_fmac_f32_e32 v2, 0x3f5db3d7, v25
	s_waitcnt lgkmcnt(0)
	v_add_f32_e32 v23, v28, v71
	v_add_f32_e32 v25, v4, v26
	;; [unrolled: 1-line block ×3, first 2 shown]
	v_sub_f32_e32 v16, v26, v27
	v_sub_f32_e32 v20, v28, v29
	v_fma_f32 v5, -0.5, v5, v71
	v_fma_f32 v4, -0.5, v17, v4
	;; [unrolled: 1-line block ×3, first 2 shown]
	v_add_f32_e32 v24, v29, v23
	v_add_f32_e32 v23, v25, v27
	v_fmamk_f32 v26, v16, 0x3f5db3d7, v5
	v_fmamk_f32 v25, v20, 0xbf5db3d7, v4
	v_fmac_f32_e32 v5, 0xbf5db3d7, v16
	v_fmac_f32_e32 v4, 0x3f5db3d7, v20
	v_fmamk_f32 v17, v30, 0x3f5db3d7, v11
	v_fmamk_f32 v16, v31, 0xbf5db3d7, v10
	v_fmac_f32_e32 v11, 0xbf5db3d7, v30
	v_fmac_f32_e32 v10, 0x3f5db3d7, v31
	global_store_dwordx2 v[21:22], v[23:24], off
	global_store_dwordx2 v[44:45], v[4:5], off
	;; [unrolled: 1-line block ×9, first 2 shown]
.LBB0_17:
	s_endpgm
	.section	.rodata,"a",@progbits
	.p2align	6, 0x0
	.amdhsa_kernel fft_rtc_fwd_len3888_factors_16_3_3_3_3_3_wgs_324_tpt_324_halfLds_sp_op_CI_CI_sbrr_dirReg
		.amdhsa_group_segment_fixed_size 0
		.amdhsa_private_segment_fixed_size 0
		.amdhsa_kernarg_size 104
		.amdhsa_user_sgpr_count 6
		.amdhsa_user_sgpr_private_segment_buffer 1
		.amdhsa_user_sgpr_dispatch_ptr 0
		.amdhsa_user_sgpr_queue_ptr 0
		.amdhsa_user_sgpr_kernarg_segment_ptr 1
		.amdhsa_user_sgpr_dispatch_id 0
		.amdhsa_user_sgpr_flat_scratch_init 0
		.amdhsa_user_sgpr_private_segment_size 0
		.amdhsa_wavefront_size32 1
		.amdhsa_uses_dynamic_stack 0
		.amdhsa_system_sgpr_private_segment_wavefront_offset 0
		.amdhsa_system_sgpr_workgroup_id_x 1
		.amdhsa_system_sgpr_workgroup_id_y 0
		.amdhsa_system_sgpr_workgroup_id_z 0
		.amdhsa_system_sgpr_workgroup_info 0
		.amdhsa_system_vgpr_workitem_id 0
		.amdhsa_next_free_vgpr 74
		.amdhsa_next_free_sgpr 31
		.amdhsa_reserve_vcc 1
		.amdhsa_reserve_flat_scratch 0
		.amdhsa_float_round_mode_32 0
		.amdhsa_float_round_mode_16_64 0
		.amdhsa_float_denorm_mode_32 3
		.amdhsa_float_denorm_mode_16_64 3
		.amdhsa_dx10_clamp 1
		.amdhsa_ieee_mode 1
		.amdhsa_fp16_overflow 0
		.amdhsa_workgroup_processor_mode 1
		.amdhsa_memory_ordered 1
		.amdhsa_forward_progress 0
		.amdhsa_shared_vgpr_count 0
		.amdhsa_exception_fp_ieee_invalid_op 0
		.amdhsa_exception_fp_denorm_src 0
		.amdhsa_exception_fp_ieee_div_zero 0
		.amdhsa_exception_fp_ieee_overflow 0
		.amdhsa_exception_fp_ieee_underflow 0
		.amdhsa_exception_fp_ieee_inexact 0
		.amdhsa_exception_int_div_zero 0
	.end_amdhsa_kernel
	.text
.Lfunc_end0:
	.size	fft_rtc_fwd_len3888_factors_16_3_3_3_3_3_wgs_324_tpt_324_halfLds_sp_op_CI_CI_sbrr_dirReg, .Lfunc_end0-fft_rtc_fwd_len3888_factors_16_3_3_3_3_3_wgs_324_tpt_324_halfLds_sp_op_CI_CI_sbrr_dirReg
                                        ; -- End function
	.section	.AMDGPU.csdata,"",@progbits
; Kernel info:
; codeLenInByte = 9860
; NumSgprs: 33
; NumVgprs: 74
; ScratchSize: 0
; MemoryBound: 0
; FloatMode: 240
; IeeeMode: 1
; LDSByteSize: 0 bytes/workgroup (compile time only)
; SGPRBlocks: 4
; VGPRBlocks: 9
; NumSGPRsForWavesPerEU: 33
; NumVGPRsForWavesPerEU: 74
; Occupancy: 12
; WaveLimiterHint : 1
; COMPUTE_PGM_RSRC2:SCRATCH_EN: 0
; COMPUTE_PGM_RSRC2:USER_SGPR: 6
; COMPUTE_PGM_RSRC2:TRAP_HANDLER: 0
; COMPUTE_PGM_RSRC2:TGID_X_EN: 1
; COMPUTE_PGM_RSRC2:TGID_Y_EN: 0
; COMPUTE_PGM_RSRC2:TGID_Z_EN: 0
; COMPUTE_PGM_RSRC2:TIDIG_COMP_CNT: 0
	.text
	.p2alignl 6, 3214868480
	.fill 48, 4, 3214868480
	.type	__hip_cuid_7dfcba0fa321c648,@object ; @__hip_cuid_7dfcba0fa321c648
	.section	.bss,"aw",@nobits
	.globl	__hip_cuid_7dfcba0fa321c648
__hip_cuid_7dfcba0fa321c648:
	.byte	0                               ; 0x0
	.size	__hip_cuid_7dfcba0fa321c648, 1

	.ident	"AMD clang version 19.0.0git (https://github.com/RadeonOpenCompute/llvm-project roc-6.4.0 25133 c7fe45cf4b819c5991fe208aaa96edf142730f1d)"
	.section	".note.GNU-stack","",@progbits
	.addrsig
	.addrsig_sym __hip_cuid_7dfcba0fa321c648
	.amdgpu_metadata
---
amdhsa.kernels:
  - .args:
      - .actual_access:  read_only
        .address_space:  global
        .offset:         0
        .size:           8
        .value_kind:     global_buffer
      - .offset:         8
        .size:           8
        .value_kind:     by_value
      - .actual_access:  read_only
        .address_space:  global
        .offset:         16
        .size:           8
        .value_kind:     global_buffer
      - .actual_access:  read_only
        .address_space:  global
        .offset:         24
        .size:           8
        .value_kind:     global_buffer
      - .actual_access:  read_only
        .address_space:  global
        .offset:         32
        .size:           8
        .value_kind:     global_buffer
      - .offset:         40
        .size:           8
        .value_kind:     by_value
      - .actual_access:  read_only
        .address_space:  global
        .offset:         48
        .size:           8
        .value_kind:     global_buffer
      - .actual_access:  read_only
        .address_space:  global
        .offset:         56
        .size:           8
        .value_kind:     global_buffer
      - .offset:         64
        .size:           4
        .value_kind:     by_value
      - .actual_access:  read_only
        .address_space:  global
        .offset:         72
        .size:           8
        .value_kind:     global_buffer
      - .actual_access:  read_only
        .address_space:  global
        .offset:         80
        .size:           8
        .value_kind:     global_buffer
      - .actual_access:  read_only
        .address_space:  global
        .offset:         88
        .size:           8
        .value_kind:     global_buffer
      - .actual_access:  write_only
        .address_space:  global
        .offset:         96
        .size:           8
        .value_kind:     global_buffer
    .group_segment_fixed_size: 0
    .kernarg_segment_align: 8
    .kernarg_segment_size: 104
    .language:       OpenCL C
    .language_version:
      - 2
      - 0
    .max_flat_workgroup_size: 324
    .name:           fft_rtc_fwd_len3888_factors_16_3_3_3_3_3_wgs_324_tpt_324_halfLds_sp_op_CI_CI_sbrr_dirReg
    .private_segment_fixed_size: 0
    .sgpr_count:     33
    .sgpr_spill_count: 0
    .symbol:         fft_rtc_fwd_len3888_factors_16_3_3_3_3_3_wgs_324_tpt_324_halfLds_sp_op_CI_CI_sbrr_dirReg.kd
    .uniform_work_group_size: 1
    .uses_dynamic_stack: false
    .vgpr_count:     74
    .vgpr_spill_count: 0
    .wavefront_size: 32
    .workgroup_processor_mode: 1
amdhsa.target:   amdgcn-amd-amdhsa--gfx1030
amdhsa.version:
  - 1
  - 2
...

	.end_amdgpu_metadata
